;; amdgpu-corpus repo=ROCm/rocFFT kind=compiled arch=gfx1201 opt=O3
	.text
	.amdgcn_target "amdgcn-amd-amdhsa--gfx1201"
	.amdhsa_code_object_version 6
	.protected	fft_rtc_fwd_len272_factors_16_17_wgs_119_tpt_17_halfLds_half_op_CI_CI_unitstride_sbrr_dirReg ; -- Begin function fft_rtc_fwd_len272_factors_16_17_wgs_119_tpt_17_halfLds_half_op_CI_CI_unitstride_sbrr_dirReg
	.globl	fft_rtc_fwd_len272_factors_16_17_wgs_119_tpt_17_halfLds_half_op_CI_CI_unitstride_sbrr_dirReg
	.p2align	8
	.type	fft_rtc_fwd_len272_factors_16_17_wgs_119_tpt_17_halfLds_half_op_CI_CI_unitstride_sbrr_dirReg,@function
fft_rtc_fwd_len272_factors_16_17_wgs_119_tpt_17_halfLds_half_op_CI_CI_unitstride_sbrr_dirReg: ; @fft_rtc_fwd_len272_factors_16_17_wgs_119_tpt_17_halfLds_half_op_CI_CI_unitstride_sbrr_dirReg
; %bb.0:
	s_load_b128 s[8:11], s[0:1], 0x0
	v_mul_u32_u24_e32 v1, 0xf10, v0
	s_clause 0x1
	s_load_b128 s[4:7], s[0:1], 0x58
	s_load_b128 s[12:15], s[0:1], 0x18
	v_dual_mov_b32 v3, 0 :: v_dual_mov_b32 v8, 0
	v_lshrrev_b32_e32 v1, 16, v1
	s_delay_alu instid0(VALU_DEP_1) | instskip(NEXT) | instid1(VALU_DEP_3)
	v_mad_co_u64_u32 v[6:7], null, ttmp9, 7, v[1:2]
	v_mov_b32_e32 v7, v3
	s_delay_alu instid0(VALU_DEP_2) | instskip(SKIP_2) | instid1(VALU_DEP_2)
	v_dual_mov_b32 v9, 0 :: v_dual_mov_b32 v4, v6
	s_wait_kmcnt 0x0
	v_cmp_lt_u64_e64 s2, s[10:11], 2
	v_dual_mov_b32 v1, v8 :: v_dual_mov_b32 v2, v9
	v_mov_b32_e32 v5, v7
	s_delay_alu instid0(VALU_DEP_3)
	s_and_b32 vcc_lo, exec_lo, s2
	s_cbranch_vccnz .LBB0_8
; %bb.1:
	s_load_b64 s[2:3], s[0:1], 0x10
	v_dual_mov_b32 v8, 0 :: v_dual_mov_b32 v11, v7
	v_dual_mov_b32 v9, 0 :: v_dual_mov_b32 v10, v6
	s_delay_alu instid0(VALU_DEP_2) | instskip(SKIP_2) | instid1(VALU_DEP_2)
	v_mov_b32_e32 v1, v8
	s_add_nc_u64 s[16:17], s[14:15], 8
	s_add_nc_u64 s[18:19], s[12:13], 8
	v_mov_b32_e32 v2, v9
	s_mov_b64 s[20:21], 1
	s_wait_kmcnt 0x0
	s_add_nc_u64 s[22:23], s[2:3], 8
	s_mov_b32 s3, 0
.LBB0_2:                                ; =>This Inner Loop Header: Depth=1
	s_load_b64 s[24:25], s[22:23], 0x0
	s_wait_kmcnt 0x0
	s_delay_alu instid0(VALU_DEP_1) | instskip(NEXT) | instid1(VALU_DEP_1)
	v_or_b32_e32 v4, s25, v11
	v_cmp_ne_u64_e32 vcc_lo, 0, v[3:4]
                                        ; implicit-def: $vgpr4_vgpr5
	s_and_saveexec_b32 s2, vcc_lo
	s_wait_alu 0xfffe
	s_xor_b32 s26, exec_lo, s2
	s_cbranch_execz .LBB0_4
; %bb.3:                                ;   in Loop: Header=BB0_2 Depth=1
	s_cvt_f32_u32 s2, s24
	s_cvt_f32_u32 s27, s25
	s_sub_nc_u64 s[30:31], 0, s[24:25]
	s_wait_alu 0xfffe
	s_delay_alu instid0(SALU_CYCLE_1) | instskip(SKIP_1) | instid1(SALU_CYCLE_2)
	s_fmamk_f32 s2, s27, 0x4f800000, s2
	s_wait_alu 0xfffe
	v_s_rcp_f32 s2, s2
	s_delay_alu instid0(TRANS32_DEP_1) | instskip(SKIP_1) | instid1(SALU_CYCLE_2)
	s_mul_f32 s2, s2, 0x5f7ffffc
	s_wait_alu 0xfffe
	s_mul_f32 s27, s2, 0x2f800000
	s_wait_alu 0xfffe
	s_delay_alu instid0(SALU_CYCLE_2) | instskip(SKIP_1) | instid1(SALU_CYCLE_2)
	s_trunc_f32 s27, s27
	s_wait_alu 0xfffe
	s_fmamk_f32 s2, s27, 0xcf800000, s2
	s_cvt_u32_f32 s29, s27
	s_wait_alu 0xfffe
	s_delay_alu instid0(SALU_CYCLE_1) | instskip(SKIP_1) | instid1(SALU_CYCLE_2)
	s_cvt_u32_f32 s28, s2
	s_wait_alu 0xfffe
	s_mul_u64 s[34:35], s[30:31], s[28:29]
	s_wait_alu 0xfffe
	s_mul_hi_u32 s37, s28, s35
	s_mul_i32 s36, s28, s35
	s_mul_hi_u32 s2, s28, s34
	s_mul_i32 s33, s29, s34
	s_wait_alu 0xfffe
	s_add_nc_u64 s[36:37], s[2:3], s[36:37]
	s_mul_hi_u32 s27, s29, s34
	s_mul_hi_u32 s38, s29, s35
	s_add_co_u32 s2, s36, s33
	s_wait_alu 0xfffe
	s_add_co_ci_u32 s2, s37, s27
	s_mul_i32 s34, s29, s35
	s_add_co_ci_u32 s35, s38, 0
	s_wait_alu 0xfffe
	s_add_nc_u64 s[34:35], s[2:3], s[34:35]
	s_wait_alu 0xfffe
	v_add_co_u32 v4, s2, s28, s34
	s_delay_alu instid0(VALU_DEP_1) | instskip(SKIP_1) | instid1(VALU_DEP_1)
	s_cmp_lg_u32 s2, 0
	s_add_co_ci_u32 s29, s29, s35
	v_readfirstlane_b32 s28, v4
	s_wait_alu 0xfffe
	s_delay_alu instid0(VALU_DEP_1)
	s_mul_u64 s[30:31], s[30:31], s[28:29]
	s_wait_alu 0xfffe
	s_mul_hi_u32 s35, s28, s31
	s_mul_i32 s34, s28, s31
	s_mul_hi_u32 s2, s28, s30
	s_mul_i32 s33, s29, s30
	s_wait_alu 0xfffe
	s_add_nc_u64 s[34:35], s[2:3], s[34:35]
	s_mul_hi_u32 s27, s29, s30
	s_mul_hi_u32 s28, s29, s31
	s_wait_alu 0xfffe
	s_add_co_u32 s2, s34, s33
	s_add_co_ci_u32 s2, s35, s27
	s_mul_i32 s30, s29, s31
	s_add_co_ci_u32 s31, s28, 0
	s_wait_alu 0xfffe
	s_add_nc_u64 s[30:31], s[2:3], s[30:31]
	s_wait_alu 0xfffe
	v_add_co_u32 v7, s2, v4, s30
	s_delay_alu instid0(VALU_DEP_1) | instskip(SKIP_1) | instid1(VALU_DEP_1)
	s_cmp_lg_u32 s2, 0
	s_add_co_ci_u32 s2, s29, s31
	v_mul_hi_u32 v16, v10, v7
	s_wait_alu 0xfffe
	v_mad_co_u64_u32 v[4:5], null, v10, s2, 0
	v_mad_co_u64_u32 v[12:13], null, v11, v7, 0
	;; [unrolled: 1-line block ×3, first 2 shown]
	s_delay_alu instid0(VALU_DEP_3) | instskip(SKIP_1) | instid1(VALU_DEP_4)
	v_add_co_u32 v4, vcc_lo, v16, v4
	s_wait_alu 0xfffd
	v_add_co_ci_u32_e32 v5, vcc_lo, 0, v5, vcc_lo
	s_delay_alu instid0(VALU_DEP_2) | instskip(SKIP_1) | instid1(VALU_DEP_2)
	v_add_co_u32 v4, vcc_lo, v4, v12
	s_wait_alu 0xfffd
	v_add_co_ci_u32_e32 v4, vcc_lo, v5, v13, vcc_lo
	s_wait_alu 0xfffd
	v_add_co_ci_u32_e32 v5, vcc_lo, 0, v15, vcc_lo
	s_delay_alu instid0(VALU_DEP_2) | instskip(SKIP_1) | instid1(VALU_DEP_2)
	v_add_co_u32 v7, vcc_lo, v4, v14
	s_wait_alu 0xfffd
	v_add_co_ci_u32_e32 v12, vcc_lo, 0, v5, vcc_lo
	s_delay_alu instid0(VALU_DEP_2) | instskip(SKIP_1) | instid1(VALU_DEP_3)
	v_mul_lo_u32 v13, s25, v7
	v_mad_co_u64_u32 v[4:5], null, s24, v7, 0
	v_mul_lo_u32 v14, s24, v12
	s_delay_alu instid0(VALU_DEP_2) | instskip(NEXT) | instid1(VALU_DEP_2)
	v_sub_co_u32 v4, vcc_lo, v10, v4
	v_add3_u32 v5, v5, v14, v13
	s_delay_alu instid0(VALU_DEP_1) | instskip(SKIP_1) | instid1(VALU_DEP_1)
	v_sub_nc_u32_e32 v13, v11, v5
	s_wait_alu 0xfffd
	v_subrev_co_ci_u32_e64 v13, s2, s25, v13, vcc_lo
	v_add_co_u32 v14, s2, v7, 2
	s_wait_alu 0xf1ff
	v_add_co_ci_u32_e64 v15, s2, 0, v12, s2
	v_sub_co_u32 v16, s2, v4, s24
	v_sub_co_ci_u32_e32 v5, vcc_lo, v11, v5, vcc_lo
	s_wait_alu 0xf1ff
	v_subrev_co_ci_u32_e64 v13, s2, 0, v13, s2
	s_delay_alu instid0(VALU_DEP_3) | instskip(NEXT) | instid1(VALU_DEP_3)
	v_cmp_le_u32_e32 vcc_lo, s24, v16
	v_cmp_eq_u32_e64 s2, s25, v5
	s_wait_alu 0xfffd
	v_cndmask_b32_e64 v16, 0, -1, vcc_lo
	v_cmp_le_u32_e32 vcc_lo, s25, v13
	s_wait_alu 0xfffd
	v_cndmask_b32_e64 v17, 0, -1, vcc_lo
	v_cmp_le_u32_e32 vcc_lo, s24, v4
	;; [unrolled: 3-line block ×3, first 2 shown]
	s_wait_alu 0xfffd
	v_cndmask_b32_e64 v18, 0, -1, vcc_lo
	v_cmp_eq_u32_e32 vcc_lo, s25, v13
	s_wait_alu 0xf1ff
	s_delay_alu instid0(VALU_DEP_2)
	v_cndmask_b32_e64 v4, v18, v4, s2
	s_wait_alu 0xfffd
	v_cndmask_b32_e32 v13, v17, v16, vcc_lo
	v_add_co_u32 v16, vcc_lo, v7, 1
	s_wait_alu 0xfffd
	v_add_co_ci_u32_e32 v17, vcc_lo, 0, v12, vcc_lo
	s_delay_alu instid0(VALU_DEP_3) | instskip(SKIP_2) | instid1(VALU_DEP_3)
	v_cmp_ne_u32_e32 vcc_lo, 0, v13
	s_wait_alu 0xfffd
	v_cndmask_b32_e32 v13, v16, v14, vcc_lo
	v_cndmask_b32_e32 v5, v17, v15, vcc_lo
	v_cmp_ne_u32_e32 vcc_lo, 0, v4
	s_wait_alu 0xfffd
	s_delay_alu instid0(VALU_DEP_3) | instskip(NEXT) | instid1(VALU_DEP_3)
	v_cndmask_b32_e32 v4, v7, v13, vcc_lo
	v_cndmask_b32_e32 v5, v12, v5, vcc_lo
.LBB0_4:                                ;   in Loop: Header=BB0_2 Depth=1
	s_wait_alu 0xfffe
	s_and_not1_saveexec_b32 s2, s26
	s_cbranch_execz .LBB0_6
; %bb.5:                                ;   in Loop: Header=BB0_2 Depth=1
	v_cvt_f32_u32_e32 v4, s24
	s_sub_co_i32 s26, 0, s24
	s_delay_alu instid0(VALU_DEP_1) | instskip(NEXT) | instid1(TRANS32_DEP_1)
	v_rcp_iflag_f32_e32 v4, v4
	v_mul_f32_e32 v4, 0x4f7ffffe, v4
	s_delay_alu instid0(VALU_DEP_1) | instskip(SKIP_1) | instid1(VALU_DEP_1)
	v_cvt_u32_f32_e32 v4, v4
	s_wait_alu 0xfffe
	v_mul_lo_u32 v5, s26, v4
	s_delay_alu instid0(VALU_DEP_1) | instskip(NEXT) | instid1(VALU_DEP_1)
	v_mul_hi_u32 v5, v4, v5
	v_add_nc_u32_e32 v4, v4, v5
	s_delay_alu instid0(VALU_DEP_1) | instskip(NEXT) | instid1(VALU_DEP_1)
	v_mul_hi_u32 v4, v10, v4
	v_mul_lo_u32 v5, v4, s24
	v_add_nc_u32_e32 v7, 1, v4
	s_delay_alu instid0(VALU_DEP_2) | instskip(NEXT) | instid1(VALU_DEP_1)
	v_sub_nc_u32_e32 v5, v10, v5
	v_subrev_nc_u32_e32 v12, s24, v5
	v_cmp_le_u32_e32 vcc_lo, s24, v5
	s_wait_alu 0xfffd
	s_delay_alu instid0(VALU_DEP_2) | instskip(NEXT) | instid1(VALU_DEP_1)
	v_dual_cndmask_b32 v5, v5, v12 :: v_dual_cndmask_b32 v4, v4, v7
	v_cmp_le_u32_e32 vcc_lo, s24, v5
	s_delay_alu instid0(VALU_DEP_2) | instskip(SKIP_1) | instid1(VALU_DEP_1)
	v_add_nc_u32_e32 v7, 1, v4
	s_wait_alu 0xfffd
	v_dual_mov_b32 v5, v3 :: v_dual_cndmask_b32 v4, v4, v7
.LBB0_6:                                ;   in Loop: Header=BB0_2 Depth=1
	s_wait_alu 0xfffe
	s_or_b32 exec_lo, exec_lo, s2
	s_delay_alu instid0(VALU_DEP_1) | instskip(NEXT) | instid1(VALU_DEP_2)
	v_mul_lo_u32 v7, v5, s24
	v_mul_lo_u32 v14, v4, s25
	s_load_b64 s[26:27], s[18:19], 0x0
	v_mad_co_u64_u32 v[12:13], null, v4, s24, 0
	s_load_b64 s[24:25], s[16:17], 0x0
	s_add_nc_u64 s[20:21], s[20:21], 1
	s_add_nc_u64 s[16:17], s[16:17], 8
	s_wait_alu 0xfffe
	v_cmp_ge_u64_e64 s2, s[20:21], s[10:11]
	s_add_nc_u64 s[18:19], s[18:19], 8
	s_add_nc_u64 s[22:23], s[22:23], 8
	v_add3_u32 v7, v13, v14, v7
	v_sub_co_u32 v10, vcc_lo, v10, v12
	s_wait_alu 0xfffd
	s_delay_alu instid0(VALU_DEP_2) | instskip(SKIP_2) | instid1(VALU_DEP_1)
	v_sub_co_ci_u32_e32 v7, vcc_lo, v11, v7, vcc_lo
	s_and_b32 vcc_lo, exec_lo, s2
	s_wait_kmcnt 0x0
	v_mul_lo_u32 v11, s26, v7
	v_mul_lo_u32 v12, s27, v10
	v_mad_co_u64_u32 v[8:9], null, s26, v10, v[8:9]
	v_mul_lo_u32 v7, s24, v7
	v_mul_lo_u32 v13, s25, v10
	v_mad_co_u64_u32 v[1:2], null, s24, v10, v[1:2]
	s_delay_alu instid0(VALU_DEP_4) | instskip(NEXT) | instid1(VALU_DEP_2)
	v_add3_u32 v9, v12, v9, v11
	v_add3_u32 v2, v13, v2, v7
	s_wait_alu 0xfffe
	s_cbranch_vccnz .LBB0_8
; %bb.7:                                ;   in Loop: Header=BB0_2 Depth=1
	v_dual_mov_b32 v11, v5 :: v_dual_mov_b32 v10, v4
	s_branch .LBB0_2
.LBB0_8:
	s_load_b64 s[0:1], s[0:1], 0x28
	v_mul_hi_u32 v33, 0xf0f0f10, v0
	s_lshl_b64 s[10:11], s[10:11], 3
                                        ; implicit-def: $sgpr2
                                        ; implicit-def: $vgpr3
	s_wait_kmcnt 0x0
	v_cmp_gt_u64_e32 vcc_lo, s[0:1], v[4:5]
	v_cmp_le_u64_e64 s0, s[0:1], v[4:5]
	s_delay_alu instid0(VALU_DEP_1)
	s_and_saveexec_b32 s1, s0
	s_wait_alu 0xfffe
	s_xor_b32 s0, exec_lo, s1
; %bb.9:
	v_mul_u32_u24_e32 v3, 17, v33
	s_mov_b32 s2, 0
                                        ; implicit-def: $vgpr33
                                        ; implicit-def: $vgpr8_vgpr9
	s_delay_alu instid0(VALU_DEP_1)
	v_sub_nc_u32_e32 v3, v0, v3
                                        ; implicit-def: $vgpr0
; %bb.10:
	s_wait_alu 0xfffe
	s_or_saveexec_b32 s1, s0
	v_dual_mov_b32 v7, s2 :: v_dual_mov_b32 v18, s2
	v_dual_mov_b32 v16, s2 :: v_dual_mov_b32 v17, s2
	;; [unrolled: 1-line block ×4, first 2 shown]
	s_add_nc_u64 s[2:3], s[14:15], s[10:11]
                                        ; implicit-def: $vgpr10
                                        ; implicit-def: $vgpr22
                                        ; implicit-def: $vgpr20
                                        ; implicit-def: $vgpr11
                                        ; implicit-def: $vgpr23
                                        ; implicit-def: $vgpr25
                                        ; implicit-def: $vgpr21
                                        ; implicit-def: $vgpr19
                                        ; implicit-def: $vgpr29
                                        ; implicit-def: $vgpr31
                                        ; implicit-def: $vgpr24
                                        ; implicit-def: $vgpr26
                                        ; implicit-def: $vgpr30
                                        ; implicit-def: $vgpr32
                                        ; implicit-def: $vgpr27
                                        ; implicit-def: $vgpr28
	s_wait_alu 0xfffe
	s_xor_b32 exec_lo, exec_lo, s1
	s_cbranch_execz .LBB0_12
; %bb.11:
	s_add_nc_u64 s[10:11], s[12:13], s[10:11]
	s_load_b64 s[10:11], s[10:11], 0x0
	s_wait_kmcnt 0x0
	v_mul_lo_u32 v3, s11, v4
	v_mul_lo_u32 v7, s10, v5
	v_mad_co_u64_u32 v[10:11], null, s10, v4, 0
	s_delay_alu instid0(VALU_DEP_1) | instskip(SKIP_2) | instid1(VALU_DEP_3)
	v_add3_u32 v11, v11, v7, v3
	v_mul_u32_u24_e32 v3, 17, v33
	v_lshlrev_b64_e32 v[7:8], 2, v[8:9]
	v_lshlrev_b64_e32 v[10:11], 2, v[10:11]
	s_delay_alu instid0(VALU_DEP_3) | instskip(NEXT) | instid1(VALU_DEP_2)
	v_sub_nc_u32_e32 v3, v0, v3
	v_add_co_u32 v0, s0, s4, v10
	s_wait_alu 0xf1ff
	s_delay_alu instid0(VALU_DEP_3) | instskip(NEXT) | instid1(VALU_DEP_3)
	v_add_co_ci_u32_e64 v9, s0, s5, v11, s0
	v_lshlrev_b32_e32 v10, 2, v3
	s_delay_alu instid0(VALU_DEP_3) | instskip(SKIP_1) | instid1(VALU_DEP_3)
	v_add_co_u32 v0, s0, v0, v7
	s_wait_alu 0xf1ff
	v_add_co_ci_u32_e64 v7, s0, v9, v8, s0
	s_delay_alu instid0(VALU_DEP_2) | instskip(SKIP_1) | instid1(VALU_DEP_2)
	v_add_co_u32 v8, s0, v0, v10
	s_wait_alu 0xf1ff
	v_add_co_ci_u32_e64 v9, s0, 0, v7, s0
	s_clause 0xf
	global_load_b32 v22, v[8:9], off offset:544
	global_load_b32 v11, v[8:9], off offset:612
	;; [unrolled: 1-line block ×8, first 2 shown]
	global_load_b32 v7, v[8:9], off
	global_load_b32 v12, v[8:9], off offset:68
	global_load_b32 v16, v[8:9], off offset:136
	;; [unrolled: 1-line block ×7, first 2 shown]
	s_wait_loadcnt 0xf
	v_lshrrev_b32_e32 v10, 16, v22
	s_wait_loadcnt 0xe
	v_lshrrev_b32_e32 v20, 16, v11
	;; [unrolled: 2-line block ×8, first 2 shown]
.LBB0_12:
	s_or_b32 exec_lo, exec_lo, s1
	v_mul_hi_u32 v0, 0x24924925, v6
	s_wait_loadcnt 0x6
	v_sub_f16_e32 v36, v12, v11
	s_wait_loadcnt 0x3
	v_lshrrev_b32_e32 v9, 16, v18
	v_sub_f16_e32 v8, v18, v31
	v_lshrrev_b32_e32 v31, 16, v16
	s_wait_loadcnt 0x1
	v_lshrrev_b32_e32 v33, 16, v17
	v_lshrrev_b32_e32 v35, 16, v12
	;; [unrolled: 1-line block ×3, first 2 shown]
	v_sub_nc_u32_e32 v34, v6, v0
	v_sub_f16_e32 v22, v7, v22
	v_sub_f16_e32 v25, v16, v25
	;; [unrolled: 1-line block ×3, first 2 shown]
	s_wait_loadcnt 0x0
	v_lshrrev_b32_e32 v38, 16, v13
	v_lshrrev_b32_e32 v11, 1, v34
	;; [unrolled: 1-line block ×3, first 2 shown]
	v_sub_f16_e32 v23, v31, v23
	v_sub_f16_e32 v20, v35, v20
	v_sub_f16_e32 v24, v37, v24
	v_add_nc_u32_e32 v0, v11, v0
	v_sub_f16_e32 v11, v9, v29
	v_sub_f16_e32 v29, v33, v30
	;; [unrolled: 1-line block ×4, first 2 shown]
	v_lshrrev_b32_e32 v0, 2, v0
	v_fma_f16 v39, v7, 2.0, -v22
	v_fma_f16 v18, v18, 2.0, -v8
	;; [unrolled: 1-line block ×4, first 2 shown]
	v_mul_lo_u32 v0, v0, 7
	v_fma_f16 v30, v12, 2.0, -v36
	v_sub_f16_e32 v40, v34, v21
	v_sub_f16_e32 v27, v38, v27
	v_fma_f16 v12, v31, 2.0, -v23
	v_fma_f16 v21, v33, 2.0, -v29
	;; [unrolled: 1-line block ×4, first 2 shown]
	v_sub_nc_u32_e32 v0, v6, v0
	v_sub_f16_e32 v28, v13, v28
	v_fma_f16 v15, v15, 2.0, -v26
	v_fma_f16 v35, v38, 2.0, -v27
	v_sub_f16_e32 v6, v16, v17
	v_mul_u32_u24_e32 v50, 0x110, v0
	v_sub_f16_e32 v0, v39, v18
	v_fma_f16 v18, v34, 2.0, -v40
	v_sub_f16_e32 v34, v22, v11
	v_sub_f16_e32 v17, v25, v29
	;; [unrolled: 1-line block ×5, first 2 shown]
	v_fma_f16 v14, v14, 2.0, -v19
	v_fma_f16 v13, v13, 2.0, -v28
	;; [unrolled: 1-line block ×4, first 2 shown]
	v_add_f16_e32 v29, v23, v32
	v_fma_f16 v25, v25, 2.0, -v17
	v_sub_f16_e32 v41, v30, v15
	v_fma_f16 v24, v31, 2.0, -v33
	v_fma_f16 v31, v36, 2.0, -v42
	v_add_f16_e32 v28, v40, v28
	v_fma_f16 v39, v19, 2.0, -v27
	v_fma_f16 v23, v23, 2.0, -v29
	v_add_f16_e32 v43, v20, v26
	v_fma_f16 v26, v30, 2.0, -v41
	v_sub_f16_e32 v30, v14, v13
	v_fmamk_f16 v47, v25, 0xb9a8, v22
	v_fma_f16 v40, v40, 2.0, -v28
	v_fmamk_f16 v13, v39, 0xb9a8, v31
	v_sub_f16_e32 v21, v12, v21
	v_fma_f16 v16, v16, 2.0, -v6
	v_fma_f16 v36, v20, 2.0, -v43
	v_sub_f16_e32 v32, v18, v35
	v_fmac_f16_e32 v47, 0xb9a8, v23
	v_fmac_f16_e32 v13, 0xb9a8, v40
	v_fma_f16 v14, v14, 2.0, -v30
	v_sub_f16_e32 v35, v37, v16
	v_fma_f16 v18, v18, 2.0, -v32
	v_sub_f16_e32 v49, v0, v21
	v_mul_f16_e32 v16, 0x39a8, v23
	v_fmamk_f16 v51, v17, 0x39a8, v34
	v_fma_f16 v23, v22, 2.0, -v47
	v_mul_f16_e32 v22, 0x39a8, v17
	v_fmamk_f16 v20, v40, 0xb9a8, v36
	v_fma_f16 v17, v31, 2.0, -v13
	v_sub_f16_e32 v31, v41, v32
	v_fmamk_f16 v32, v27, 0x39a8, v42
	v_mul_f16_e32 v15, 0x39a8, v25
	v_fma_f16 v25, v0, 2.0, -v49
	v_sub_f16_e32 v19, v26, v14
	v_sub_f16_e32 v46, v24, v18
	v_fmac_f16_e32 v20, 0x39a8, v39
	v_add_f16_e32 v52, v33, v30
	v_fma_f16 v18, v41, 2.0, -v31
	v_fmac_f16_e32 v51, 0xb9a8, v29
	v_fmamk_f16 v39, v28, 0x39a8, v43
	v_fmac_f16_e32 v32, 0xb9a8, v28
	v_fma_f16 v0, v26, 2.0, -v19
	v_fma_f16 v26, v36, 2.0, -v20
	;; [unrolled: 1-line block ×3, first 2 shown]
	v_fmamk_f16 v30, v18, 0xb9a8, v25
	v_fma_f16 v48, v34, 2.0, -v51
	v_fmac_f16_e32 v39, 0x39a8, v27
	v_fma_f16 v41, v42, 2.0, -v32
	v_fma_f16 v37, v37, 2.0, -v35
	v_fmac_f16_e32 v30, 0xb9a8, v36
	v_mul_f16_e32 v38, 0x39a8, v29
	v_fmamk_f16 v33, v17, 0xbb64, v23
	v_fma_f16 v40, v43, 2.0, -v39
	v_fmamk_f16 v29, v41, 0xb61f, v48
	v_mul_f16_e32 v45, 0x39a8, v18
	v_mul_f16_e32 v44, 0x39a8, v36
	v_fma_f16 v18, v25, 2.0, -v30
	v_fmamk_f16 v25, v13, 0x361f, v47
	v_fmamk_f16 v36, v31, 0x39a8, v49
	;; [unrolled: 1-line block ×3, first 2 shown]
	s_load_b64 s[2:3], s[2:3], 0x0
	v_sub_f16_e32 v34, v37, v0
	v_fmac_f16_e32 v33, 0xb61f, v26
	v_fmac_f16_e32 v29, 0xbb64, v40
	v_sub_f16_e32 v27, v35, v46
	v_fmac_f16_e32 v25, 0xbb64, v20
	v_fmac_f16_e32 v36, 0xb9a8, v52
	;; [unrolled: 1-line block ×3, first 2 shown]
	v_fma_f16 v0, v37, 2.0, -v34
	v_fma_f16 v14, v23, 2.0, -v33
	;; [unrolled: 1-line block ×3, first 2 shown]
	v_lshl_add_u32 v48, v3, 5, 0
	v_fma_f16 v35, v35, 2.0, -v27
	v_fma_f16 v37, v47, 2.0, -v25
	;; [unrolled: 1-line block ×4, first 2 shown]
	v_mul_f16_e32 v49, 0x39a8, v31
	v_lshl_add_u32 v56, v50, 1, v48
	v_pack_b32_f16 v31, v18, v23
	v_pack_b32_f16 v51, v0, v14
	v_pack_b32_f16 v53, v42, v43
	v_pack_b32_f16 v54, v35, v37
	v_pack_b32_f16 v55, v30, v29
	v_pack_b32_f16 v57, v34, v33
	v_pack_b32_f16 v58, v36, v28
	v_pack_b32_f16 v59, v27, v25
	v_mul_f16_e32 v47, 0x39a8, v52
	ds_store_2addr_b32 v56, v51, v31 offset1:1
	ds_store_2addr_b32 v56, v54, v53 offset0:2 offset1:3
	ds_store_2addr_b32 v56, v57, v55 offset0:4 offset1:5
	ds_store_2addr_b32 v56, v59, v58 offset0:6 offset1:7
	v_cmp_gt_u32_e64 s0, 16, v3
	v_lshlrev_b32_e32 v54, 1, v50
	v_lshlrev_b32_e32 v55, 1, v3
	global_wb scope:SCOPE_SE
	s_wait_dscnt 0x0
	s_wait_kmcnt 0x0
	s_barrier_signal -1
	s_barrier_wait -1
	global_inv scope:SCOPE_SE
                                        ; implicit-def: $vgpr31
	s_and_saveexec_b32 s1, s0
	s_cbranch_execz .LBB0_14
; %bb.13:
	v_mul_i32_i24_e32 v0, 0xffffffe2, v3
	v_add3_u32 v14, 0, v54, v55
	s_delay_alu instid0(VALU_DEP_2)
	v_add3_u32 v31, v48, v0, v54
	ds_load_u16 v0, v14
	ds_load_u16 v14, v31 offset:32
	ds_load_u16 v18, v31 offset:64
	;; [unrolled: 1-line block ×16, first 2 shown]
.LBB0_14:
	s_wait_alu 0xfffe
	s_or_b32 exec_lo, exec_lo, s1
	v_lshrrev_b32_e32 v7, 16, v7
	v_fma_f16 v9, v9, 2.0, -v11
	v_fma_f16 v11, v12, 2.0, -v21
	v_fma_f16 v12, v24, 2.0, -v46
	global_wb scope:SCOPE_SE
	s_wait_dscnt 0x0
	v_sub_f16_e32 v10, v7, v10
	s_barrier_signal -1
	s_barrier_wait -1
	global_inv scope:SCOPE_SE
	v_add_f16_e32 v8, v10, v8
	v_fma_f16 v7, v7, 2.0, -v10
	s_delay_alu instid0(VALU_DEP_2) | instskip(NEXT) | instid1(VALU_DEP_2)
	v_fma_f16 v10, v10, 2.0, -v8
	v_sub_f16_e32 v9, v7, v9
	v_add_f16_e32 v21, v8, v38
	s_delay_alu instid0(VALU_DEP_3) | instskip(NEXT) | instid1(VALU_DEP_3)
	v_sub_f16_e32 v16, v10, v16
	v_fma_f16 v7, v7, 2.0, -v9
	v_add_f16_e32 v6, v9, v6
	s_delay_alu instid0(VALU_DEP_4) | instskip(NEXT) | instid1(VALU_DEP_4)
	v_add_f16_e32 v21, v22, v21
	v_add_f16_e32 v15, v15, v16
	s_delay_alu instid0(VALU_DEP_4) | instskip(NEXT) | instid1(VALU_DEP_4)
	v_sub_f16_e32 v11, v7, v11
	v_fma_f16 v9, v9, 2.0, -v6
	s_delay_alu instid0(VALU_DEP_4)
	v_fma_f16 v8, v8, 2.0, -v21
	v_add_f16_e32 v16, v6, v47
	v_fma_f16 v10, v10, 2.0, -v15
	v_fmamk_f16 v48, v39, 0x3b64, v21
	v_fma_f16 v7, v7, 2.0, -v11
	v_sub_f16_e32 v22, v9, v44
	v_fmamk_f16 v39, v40, 0xb61f, v8
	v_fmamk_f16 v38, v26, 0xbb64, v10
	v_fmamk_f16 v47, v20, 0x361f, v15
	v_add_f16_e32 v49, v49, v16
	v_fmac_f16_e32 v48, 0x361f, v32
	v_sub_f16_e32 v32, v7, v12
	v_add_f16_e32 v40, v45, v22
	v_fmac_f16_e32 v39, 0x3b64, v41
	v_fmac_f16_e32 v38, 0x361f, v17
	v_add_f16_e32 v44, v11, v19
	v_fmac_f16_e32 v47, 0x3b64, v13
	v_fma_f16 v45, v6, 2.0, -v49
	v_fma_f16 v6, v7, 2.0, -v32
	;; [unrolled: 1-line block ×8, first 2 shown]
	v_pack_b32_f16 v9, v52, v51
	v_pack_b32_f16 v10, v6, v53
	;; [unrolled: 1-line block ×8, first 2 shown]
	ds_store_2addr_b32 v56, v10, v9 offset1:1
	ds_store_2addr_b32 v56, v12, v7 offset0:2 offset1:3
	ds_store_2addr_b32 v56, v13, v8 offset0:4 offset1:5
	;; [unrolled: 1-line block ×3, first 2 shown]
	global_wb scope:SCOPE_SE
	s_wait_dscnt 0x0
	s_barrier_signal -1
	s_barrier_wait -1
	global_inv scope:SCOPE_SE
                                        ; implicit-def: $vgpr56
	s_and_saveexec_b32 s1, s0
	s_cbranch_execz .LBB0_16
; %bb.15:
	v_add3_u32 v6, 0, v54, v55
	v_add3_u32 v7, 0, v55, v54
	ds_load_u16 v6, v6
	ds_load_u16 v53, v7 offset:32
	ds_load_u16 v52, v7 offset:64
	;; [unrolled: 1-line block ×16, first 2 shown]
.LBB0_16:
	s_wait_alu 0xfffe
	s_or_b32 exec_lo, exec_lo, s1
	v_cmp_gt_u32_e64 s0, 16, v3
	s_delay_alu instid0(VALU_DEP_1)
	s_and_b32 s0, vcc_lo, s0
	s_wait_alu 0xfffe
	s_and_saveexec_b32 s1, s0
	s_cbranch_execz .LBB0_18
; %bb.17:
	v_lshlrev_b32_e32 v7, 4, v3
	v_mul_lo_u32 v8, s2, v5
	s_delay_alu instid0(VALU_DEP_2) | instskip(NEXT) | instid1(VALU_DEP_1)
	v_and_b32_e32 v7, 0xf0, v7
	v_lshlrev_b32_e32 v7, 2, v7
	s_clause 0x3
	global_load_b128 v[57:60], v7, s[8:9] offset:48
	global_load_b128 v[61:64], v7, s[8:9]
	global_load_b128 v[65:68], v7, s[8:9] offset:32
	global_load_b128 v[69:72], v7, s[8:9] offset:16
	v_mul_lo_u32 v7, s3, v4
	v_mad_co_u64_u32 v[4:5], null, s2, v4, 0
	s_delay_alu instid0(VALU_DEP_1)
	v_add3_u32 v5, v5, v8, v7
	s_wait_loadcnt 0x3
	v_lshrrev_b32_e32 v74, 16, v60
	s_wait_dscnt 0x0
	v_mul_f16_e32 v7, v56, v60
	s_wait_loadcnt 0x2
	v_lshrrev_b32_e32 v75, 16, v61
	v_mul_f16_e32 v21, v53, v61
	s_wait_loadcnt 0x1
	v_lshrrev_b32_e32 v82, 16, v68
	v_lshrrev_b32_e32 v54, 16, v57
	;; [unrolled: 1-line block ×6, first 2 shown]
	v_mul_f16_e32 v8, v48, v59
	v_mul_f16_e32 v19, v52, v62
	;; [unrolled: 1-line block ×4, first 2 shown]
	v_lshrrev_b32_e32 v81, 16, v67
	v_mul_f16_e32 v11, v44, v68
	s_wait_loadcnt 0x0
	v_lshrrev_b32_e32 v85, 16, v71
	v_lshrrev_b32_e32 v86, 16, v72
	v_fmac_f16_e32 v7, v31, v74
	v_fmac_f16_e32 v21, v14, v75
	v_mul_f16_e32 v53, v53, v75
	v_mul_f16_e32 v56, v56, v74
	;; [unrolled: 1-line block ×3, first 2 shown]
	v_lshrrev_b32_e32 v77, 16, v63
	v_mul_f16_e32 v17, v51, v63
	v_mul_f16_e32 v15, v46, v64
	v_lshrrev_b32_e32 v79, 16, v65
	v_lshrrev_b32_e32 v80, 16, v66
	;; [unrolled: 1-line block ×3, first 2 shown]
	v_mul_f16_e32 v12, v39, v67
	v_mul_f16_e32 v20, v45, v70
	;; [unrolled: 1-line block ×4, first 2 shown]
	v_fmac_f16_e32 v8, v28, v73
	v_fmac_f16_e32 v19, v18, v76
	v_mul_f16_e32 v52, v52, v76
	v_mul_f16_e32 v48, v48, v73
	v_fmac_f16_e32 v9, v36, v55
	v_mul_f16_e32 v49, v49, v55
	v_fmac_f16_e32 v10, v25, v54
	v_mul_f16_e32 v46, v46, v78
	v_mul_f16_e32 v47, v47, v54
	v_fmac_f16_e32 v11, v27, v82
	v_mul_f16_e32 v54, v39, v81
	v_mul_f16_e32 v55, v41, v85
	;; [unrolled: 1-line block ×3, first 2 shown]
	v_add_f16_e32 v32, v7, v21
	v_fma_f16 v41, v14, v61, -v53
	v_fma_f16 v14, v31, v60, -v56
	;; [unrolled: 1-line block ×3, first 2 shown]
	v_sub_f16_e32 v44, v21, v7
	v_mul_f16_e32 v13, v40, v66
	v_mul_f16_e32 v22, v38, v65
	v_fmac_f16_e32 v17, v23, v77
	v_mul_f16_e32 v51, v51, v77
	v_fmac_f16_e32 v15, v35, v78
	v_fmac_f16_e32 v12, v29, v81
	;; [unrolled: 1-line block ×3, first 2 shown]
	v_mul_f16_e32 v45, v45, v84
	v_fmac_f16_e32 v24, v43, v85
	v_mul_f16_e32 v73, v40, v80
	v_fmac_f16_e32 v26, v34, v86
	v_mul_f16_e32 v75, v38, v79
	v_add_f16_e32 v31, v8, v19
	v_fma_f16 v40, v18, v62, -v52
	v_fma_f16 v18, v28, v59, -v48
	v_fma_f16 v38, v35, v64, -v46
	v_fma_f16 v29, v29, v67, -v54
	v_fma_f16 v35, v43, v71, -v55
	v_fma_f16 v34, v34, v72, -v74
	v_sub_f16_e32 v43, v19, v8
	v_mul_f16_e32 v84, 0x39e9, v32
	v_sub_f16_e32 v67, v41, v14
	v_add_f16_e32 v56, v14, v41
	v_mul_f16_e32 v74, 0xb964, v44
	v_mul_f16_e32 v105, 0x3722, v32
	;; [unrolled: 1-line block ×5, first 2 shown]
	v_mul_f16_e64 v146, 0xb461, v32
	v_mul_f16_e64 v134, 0xbbb2, v44
	v_lshrrev_b32_e32 v83, 16, v69
	v_mul_f16_e32 v16, v50, v69
	v_fmac_f16_e32 v13, v30, v80
	v_fmac_f16_e32 v22, v33, v79
	v_add_f16_e32 v28, v9, v17
	v_fma_f16 v39, v23, v63, -v51
	v_fma_f16 v23, v36, v58, -v49
	;; [unrolled: 1-line block ×4, first 2 shown]
	v_sub_f16_e32 v42, v17, v9
	v_mul_f16_e32 v79, 0x2de8, v31
	v_sub_f16_e32 v66, v40, v18
	v_add_f16_e32 v54, v18, v40
	v_mul_f16_e32 v71, 0xbbf7, v43
	v_mul_f16_e32 v88, 0xb8d2, v31
	;; [unrolled: 1-line block ×5, first 2 shown]
	v_mul_f16_e64 v143, 0xbacd, v31
	v_mul_f16_e64 v132, 0x3836, v43
	;; [unrolled: 1-line block ×4, first 2 shown]
	v_fmamk_f16 v89, v67, 0x3964, v84
	v_fmamk_f16 v92, v56, 0x39e9, v74
	;; [unrolled: 1-line block ×6, first 2 shown]
	v_fma_f16 v137, 0x3bb2, v67, v146
	v_fma_f16 v178, 0xb461, v56, v134
	v_fmac_f16_e32 v16, v37, v83
	v_mul_f16_e32 v50, v50, v83
	v_fma_f16 v25, v25, v57, -v47
	v_add_f16_e32 v45, v10, v15
	v_sub_f16_e32 v48, v15, v10
	v_mul_f16_e32 v72, 0xb8d2, v28
	v_sub_f16_e32 v64, v39, v23
	v_add_f16_e32 v53, v23, v39
	v_mul_f16_e64 v150, 0xb461, v31
	v_mul_f16_e64 v149, 0x3bb2, v43
	;; [unrolled: 1-line block ×3, first 2 shown]
	v_mul_f16_e32 v73, 0xba62, v42
	v_mul_f16_e32 v100, 0xbbdd, v28
	;; [unrolled: 1-line block ×5, first 2 shown]
	v_mul_f16_e64 v139, 0x39e9, v28
	v_mul_f16_e64 v131, 0x3964, v42
	v_fmamk_f16 v90, v66, 0x3bf7, v79
	v_fmamk_f16 v93, v54, 0x2de8, v71
	;; [unrolled: 1-line block ×6, first 2 shown]
	v_fma_f16 v147, 0xb836, v66, v143
	v_fma_f16 v179, 0xbacd, v54, v132
	;; [unrolled: 1-line block ×4, first 2 shown]
	v_add_f16_e32 v89, v6, v89
	v_add_f16_e32 v92, v0, v92
	;; [unrolled: 1-line block ×6, first 2 shown]
	v_add_f16_e64 v137, v6, v137
	v_add_f16_e64 v178, v0, v178
	v_fma_f16 v37, v37, v69, -v50
	v_add_f16_e32 v46, v11, v16
	v_sub_f16_e32 v50, v16, v11
	v_mul_f16_e64 v153, 0x3722, v31
	v_mul_f16_e64 v155, 0x3b76, v28
	;; [unrolled: 1-line block ×3, first 2 shown]
	v_mul_f16_e32 v86, 0xbbdd, v45
	v_sub_f16_e32 v69, v38, v25
	v_add_f16_e32 v57, v25, v38
	v_mul_f16_e32 v76, 0xb1e1, v48
	v_mul_f16_e32 v104, 0xb461, v45
	v_mul_f16_e32 v101, 0x3bb2, v48
	v_mul_f16_e32 v123, 0x3b76, v45
	v_mul_f16_e32 v117, 0x35c8, v48
	v_mul_f16_e64 v144, 0x3722, v45
	v_mul_f16_e64 v133, 0xbb29, v48
	v_fma_f16 v181, 0xbbb2, v66, v150
	v_fma_f16 v183, 0xb461, v54, v149
	;; [unrolled: 1-line block ×11, first 2 shown]
	v_add_f16_e32 v89, v89, v90
	v_add_f16_e32 v92, v92, v93
	;; [unrolled: 1-line block ×6, first 2 shown]
	v_add_f16_e64 v137, v137, v147
	v_add_f16_e64 v180, v6, v180
	;; [unrolled: 1-line block ×4, first 2 shown]
	v_add_f16_e32 v47, v12, v20
	v_sub_f16_e32 v52, v20, v12
	v_mul_f16_e64 v167, 0xb836, v44
	v_mul_f16_e64 v169, 0x2de8, v28
	;; [unrolled: 1-line block ×4, first 2 shown]
	v_mul_f16_e32 v82, 0xbacd, v46
	v_sub_f16_e32 v70, v37, v27
	v_add_f16_e32 v58, v27, v37
	v_mul_f16_e32 v77, 0x3836, v50
	v_mul_f16_e32 v108, 0x39e9, v46
	;; [unrolled: 1-line block ×5, first 2 shown]
	v_mul_f16_e64 v140, 0xbbdd, v46
	v_mul_f16_e64 v135, 0xb1e1, v50
	v_fma_f16 v185, 0xbb29, v66, v153
	v_fma_f16 v196, 0x35c8, v64, v155
	;; [unrolled: 1-line block ×11, first 2 shown]
	v_add_f16_e64 v184, v6, v184
	v_add_f16_e64 v180, v180, v181
	;; [unrolled: 1-line block ×11, first 2 shown]
	v_fma_f16 v33, v33, v65, -v75
	v_add_f16_e32 v49, v13, v24
	v_sub_f16_e32 v55, v24, v13
	v_mul_f16_e64 v165, 0x3b29, v43
	v_mul_f16_e64 v168, 0xb8d2, v45
	;; [unrolled: 1-line block ×4, first 2 shown]
	v_sub_f16_e32 v75, v36, v29
	v_add_f16_e32 v60, v29, v36
	v_mul_f16_e32 v102, 0xb5c8, v52
	v_mul_f16_e64 v129, 0xbacd, v47
	v_mul_f16_e32 v115, 0xb836, v52
	v_mul_f16_e64 v141, 0x2de8, v47
	v_mul_f16_e64 v138, 0x3bf7, v52
	v_fma_f16 v186, 0xbacd, v56, v167
	v_fma_f16 v198, 0x3bf7, v64, v169
	v_fma_f16 v208, 0x3836, v69, v158
	v_fma_f16 v209, 0xbacd, v57, v156
	v_fmamk_f16 v90, v70, 0xb836, v82
	v_fmamk_f16 v93, v58, 0xbacd, v77
	;; [unrolled: 1-line block ×6, first 2 shown]
	v_fma_f16 v147, 0x31e1, v70, v140
	v_fma_f16 v179, 0xbbdd, v58, v135
	v_add_f16_e64 v184, v184, v185
	v_add_f16_e64 v180, v180, v196
	;; [unrolled: 1-line block ×11, first 2 shown]
	v_add_f16_e32 v51, v22, v26
	v_sub_f16_e32 v59, v26, v22
	v_mul_f16_e64 v170, 0x3b76, v46
	v_mul_f16_e64 v159, 0x39e9, v47
	;; [unrolled: 1-line block ×3, first 2 shown]
	v_sub_f16_e32 v65, v35, v30
	v_add_f16_e32 v61, v30, v35
	v_mul_f16_e32 v107, 0xbbf7, v55
	v_mul_f16_e64 v128, 0xb8d2, v49
	v_mul_f16_e32 v118, 0x3a62, v55
	v_mul_f16_e64 v145, 0x3b76, v49
	v_mul_f16_e64 v136, 0xb5c8, v55
	;; [unrolled: 1-line block ×3, first 2 shown]
	v_fma_f16 v187, 0x3722, v54, v165
	v_fma_f16 v210, 0xba62, v69, v168
	;; [unrolled: 1-line block ×3, first 2 shown]
	v_add_f16_e64 v186, v0, v186
	v_fma_f16 v183, 0x2de8, v58, v154
	v_fma_f16 v190, 0x3b76, v60, v102
	;; [unrolled: 1-line block ×6, first 2 shown]
	v_add_f16_e64 v184, v184, v198
	v_add_f16_e64 v180, v180, v208
	;; [unrolled: 1-line block ×3, first 2 shown]
	v_add_f16_e32 v89, v89, v90
	v_add_f16_e32 v90, v92, v93
	;; [unrolled: 1-line block ×6, first 2 shown]
	v_add_f16_e64 v125, v137, v147
	v_add_f16_e64 v147, v178, v179
	v_mul_f16_e64 v173, 0xbbdd, v47
	v_mul_f16_e64 v163, 0xbbdd, v49
	;; [unrolled: 1-line block ×3, first 2 shown]
	v_sub_f16_e32 v63, v34, v33
	v_add_f16_e32 v62, v33, v34
	v_mul_f16_e32 v103, 0xb836, v59
	v_mul_f16_e64 v130, 0x39e9, v51
	v_mul_f16_e32 v121, 0x3964, v59
	v_mul_f16_e64 v148, 0xb8d2, v51
	v_mul_f16_e64 v142, 0xba62, v59
	;; [unrolled: 1-line block ×3, first 2 shown]
	v_fma_f16 v200, 0x2de8, v53, v175
	v_fma_f16 v185, 0x35c8, v70, v170
	v_add_f16_e64 v186, v186, v187
	v_fma_f16 v195, 0x3964, v75, v159
	v_fma_f16 v196, 0x39e9, v60, v157
	;; [unrolled: 1-line block ×7, first 2 shown]
	v_add_f16_e64 v184, v184, v210
	v_add_f16_e64 v179, v180, v181
	;; [unrolled: 1-line block ×8, first 2 shown]
	v_mul_f16_e64 v172, 0x39e9, v49
	v_mul_f16_e64 v166, 0x3722, v51
	;; [unrolled: 1-line block ×4, first 2 shown]
	v_fma_f16 v197, 0x31e1, v75, v173
	v_add_f16_e64 v186, v186, v200
	v_fma_f16 v206, 0x31e1, v65, v163
	v_fma_f16 v207, 0xbbdd, v61, v160
	v_fmamk_f16 v93, v62, 0xbacd, v103
	v_fma_f16 v94, 0xb964, v63, v130
	v_fmamk_f16 v97, v62, 0x39e9, v121
	v_fma_f16 v110, 0x3a62, v63, v148
	v_fma_f16 v113, 0xb8d2, v62, v142
	;; [unrolled: 1-line block ×3, first 2 shown]
	v_add_f16_e64 v182, v184, v185
	v_add_f16_e64 v179, v179, v195
	;; [unrolled: 1-line block ×8, first 2 shown]
	v_mul_f16_e64 v174, 0xb461, v51
	v_fma_f16 v208, 0xb964, v65, v172
	v_fma_f16 v178, 0xbb29, v63, v166
	;; [unrolled: 1-line block ×3, first 2 shown]
	v_add_f16_e64 v182, v182, v197
	v_add_f16_e64 v179, v179, v206
	;; [unrolled: 1-line block ×3, first 2 shown]
	v_add_f16_e32 v93, v96, v93
	v_add_f16_e32 v94, v99, v94
	;; [unrolled: 1-line block ×4, first 2 shown]
	v_add_f16_e64 v99, v147, v113
	v_add_f16_e64 v113, v186, v137
	v_fma_f16 v125, 0x3b76, v58, v177
	v_mul_f16_e64 v137, 0xbbdd, v32
	v_mul_f16_e64 v183, 0xb1e1, v52
	v_add_f16_e64 v182, v182, v208
	v_add_f16_e64 v110, v179, v178
	;; [unrolled: 1-line block ×3, first 2 shown]
	v_fma_f16 v147, 0x3bb2, v63, v174
	v_fma_f16 v178, 0x31e1, v67, v137
	v_mul_f16_e64 v179, 0x3b76, v31
	v_add_f16_e32 v125, v113, v125
	v_fma_f16 v180, 0xbbdd, v60, v183
	v_mul_f16_e64 v181, 0x3964, v55
	v_mul_f16_e32 v78, 0x3bb2, v52
	v_mul_f16_e32 v106, 0x3b76, v47
	v_add_f16_e64 v178, v6, v178
	v_fma_f16 v184, 0xb5c8, v66, v179
	v_mul_f16_e64 v185, 0xbacd, v28
	v_add_f16_e64 v113, v182, v147
	v_add_f16_e64 v125, v125, v180
	v_fma_f16 v147, 0x39e9, v61, v181
	v_fma_f16 v188, 0xb461, v60, v78
	;; [unrolled: 1-line block ×3, first 2 shown]
	v_add_f16_e64 v178, v178, v184
	v_fma_f16 v180, 0x3836, v64, v185
	v_mul_f16_e64 v182, 0x39e9, v45
	v_add_f16_e64 v125, v125, v147
	v_mul_f16_e64 v147, 0xb1e1, v44
	v_mul_f16_e32 v83, 0xb461, v47
	v_add_f16_e64 v90, v90, v188
	v_add_f16_e64 v92, v92, v189
	;; [unrolled: 1-line block ×3, first 2 shown]
	v_fma_f16 v180, 0xb964, v69, v182
	v_mul_f16_e64 v186, 0xb8d2, v46
	v_fma_f16 v188, 0xbbdd, v56, v147
	v_mul_f16_e64 v189, 0x35c8, v43
	;; [unrolled: 2-line block ×3, first 2 shown]
	v_add_f16_e64 v178, v178, v180
	v_fma_f16 v180, 0x3a62, v70, v186
	v_mul_f16_e64 v190, 0x3722, v47
	v_add_f16_e64 v188, v0, v188
	v_fma_f16 v191, 0x3b76, v54, v189
	v_mul_f16_e64 v192, 0xb836, v42
	v_add_f16_e64 v89, v89, v187
	v_fma_f16 v187, 0xb461, v62, v184
	v_add_f16_e64 v178, v178, v180
	v_fma_f16 v180, 0xbb29, v75, v190
	v_mul_f16_e64 v193, 0xb461, v49
	v_add_f16_e64 v188, v188, v191
	v_fma_f16 v191, 0xbacd, v53, v192
	v_mul_f16_e64 v194, 0x3964, v48
	v_mul_f16_e32 v80, 0x3722, v49
	v_add_f16_e64 v178, v178, v180
	v_fma_f16 v180, 0x3bb2, v65, v193
	v_add_f16_e64 v125, v125, v187
	v_add_f16_e64 v187, v188, v191
	v_fma_f16 v188, 0x39e9, v57, v194
	v_mul_f16_e64 v191, 0xba62, v50
	v_fma_f16 v198, 0xbb29, v65, v80
	v_add_f16_e64 v178, v178, v180
	v_mul_f16_e64 v180, 0x2de8, v51
	v_fmac_f16_e64 v137, 0xb1e1, v67
	v_add_f16_e64 v187, v187, v188
	v_fma_f16 v188, 0xb8d2, v58, v191
	v_mul_f16_e64 v195, 0x3b29, v52
	v_add_f16_e64 v89, v89, v198
	v_fma_f16 v196, 0xbbf7, v63, v180
	v_add_f16_e64 v197, v6, v137
	v_fmac_f16_e64 v179, 0x35c8, v66
	v_add_f16_e64 v187, v187, v188
	v_fma_f16 v188, 0x3722, v60, v195
	v_mul_f16_e64 v198, 0xbbb2, v55
	v_add_f16_e64 v137, v178, v196
	v_add_f16_e64 v178, v197, v179
	v_fmac_f16_e64 v185, 0xb836, v64
	v_add_f16_e64 v179, v187, v188
	v_fma_f16 v187, 0xb461, v61, v198
	v_mul_f16_e64 v188, 0x3bf7, v59
	v_fma_f16 v147, v56, 0xbbdd, -v147
	v_add_f16_e32 v21, v6, v21
	v_add_f16_e64 v178, v178, v185
	v_fmac_f16_e64 v182, 0x3964, v69
	v_add_f16_e64 v179, v179, v187
	v_fma_f16 v185, 0x2de8, v62, v188
	v_add_f16_e64 v187, v0, v147
	v_fma_f16 v189, v54, 0x3b76, -v189
	v_fmac_f16_e32 v84, 0xb964, v67
	v_add_f16_e32 v19, v21, v19
	v_add_f16_e64 v178, v178, v182
	v_add_f16_e64 v147, v179, v185
	v_fmac_f16_e64 v171, 0xb836, v67
	v_add_f16_e64 v179, v187, v189
	v_fma_f16 v182, v53, 0xbacd, -v192
	v_add_f16_e32 v84, v6, v84
	v_fmac_f16_e32 v79, 0xbbf7, v66
	v_add_f16_e32 v17, v19, v17
	v_add_f16_e32 v41, v0, v41
	v_add_f16_e64 v171, v6, v171
	v_fmac_f16_e64 v153, 0x3b29, v66
	v_add_f16_e64 v179, v179, v182
	v_fma_f16 v182, v57, 0x39e9, -v194
	v_add_f16_e32 v79, v84, v79
	v_fmac_f16_e32 v72, 0xba62, v64
	v_add_f16_e32 v15, v17, v15
	v_add_f16_e32 v40, v41, v40
	;; [unrolled: 8-line block ×3, first 2 shown]
	v_add_f16_e64 v169, v153, v169
	v_fmac_f16_e64 v168, 0x3a62, v69
	v_add_f16_e64 v171, v171, v179
	v_fma_f16 v179, v60, 0x3722, -v195
	v_fma_f16 v74, v56, 0x39e9, -v74
	v_add_f16_e32 v72, v72, v86
	v_fmac_f16_e32 v82, 0x3836, v70
	v_add_f16_e32 v15, v15, v20
	v_add_f16_e32 v19, v39, v38
	v_fma_f16 v167, v56, 0xbacd, -v167
	v_add_f16_e64 v168, v169, v168
	v_fmac_f16_e64 v170, 0xb5c8, v70
	v_add_f16_e64 v169, v171, v179
	v_fma_f16 v171, v61, 0xb461, -v198
	v_fmac_f16_e64 v162, 0xba62, v67
	v_fmac_f16_e64 v146, 0xbbb2, v67
	v_fmac_f16_e32 v124, 0xbbf7, v67
	v_fmac_f16_e32 v105, 0xbb29, v67
	v_add_f16_e32 v74, v0, v74
	v_fma_f16 v71, v54, 0x2de8, -v71
	v_mul_f16_e32 v67, 0xb5c8, v67
	v_add_f16_e32 v72, v72, v82
	v_fmac_f16_e32 v83, 0x3bb2, v75
	v_add_f16_e32 v15, v15, v24
	v_add_f16_e32 v19, v19, v37
	v_mul_f16_e32 v68, 0x3b76, v51
	v_add_f16_e64 v167, v0, v167
	v_fma_f16 v165, v54, 0x3722, -v165
	v_add_f16_e64 v168, v168, v170
	v_add_f16_e64 v169, v169, v171
	v_fma_f16 v170, v62, 0x2de8, -v188
	v_fmac_f16_e64 v150, 0x3bb2, v66
	v_fmac_f16_e64 v143, 0x3836, v66
	v_fmac_f16_e32 v122, 0xb1e1, v66
	v_fmac_f16_e32 v88, 0xba62, v66
	v_add_f16_e32 v71, v74, v71
	v_fmamk_f16 v74, v32, 0x3b76, v67
	v_mul_f16_e32 v66, 0xb964, v66
	v_add_f16_e32 v72, v72, v83
	v_fmac_f16_e32 v80, 0x3b29, v65
	v_add_f16_e32 v15, v15, v26
	v_fma_f16 v26, v32, 0x3b76, -v67
	v_add_f16_e32 v19, v19, v36
	v_fma_f16 v209, 0xb5c8, v63, v68
	v_add_f16_e64 v167, v167, v165
	v_add_f16_e64 v165, v169, v170
	;; [unrolled: 1-line block ×3, first 2 shown]
	v_fmac_f16_e64 v155, 0xb5c8, v64
	v_add_f16_e64 v146, v6, v146
	v_fmac_f16_e64 v139, 0x3964, v64
	v_add_f16_e32 v124, v6, v124
	v_fmac_f16_e32 v126, 0x3bb2, v64
	v_add_f16_e32 v105, v6, v105
	v_fmac_f16_e32 v100, 0x31e1, v64
	v_add_f16_e32 v74, v6, v74
	v_mul_f16_e32 v64, 0xbb29, v64
	v_add_f16_e32 v72, v72, v80
	v_fmac_f16_e32 v68, 0x35c8, v63
	v_mul_f16_e32 v44, 0xb5c8, v44
	v_add_f16_e32 v15, v22, v15
	v_add_f16_e32 v6, v6, v26
	v_fma_f16 v22, v31, 0x39e9, -v66
	v_fmac_f16_e64 v173, 0xb1e1, v75
	v_fma_f16 v171, v53, 0x2de8, -v175
	v_add_f16_e32 v19, v19, v35
	v_fma_f16 v151, v56, 0xb8d2, -v151
	v_fmac_f16_e64 v158, 0xb836, v69
	v_fma_f16 v134, v56, 0xb461, -v134
	v_fmac_f16_e64 v144, 0xbb29, v69
	v_fmac_f16_e32 v123, 0x35c8, v69
	v_fma_f16 v116, v56, 0x2de8, -v116
	v_fma_f16 v91, v56, 0x3722, -v91
	v_fmac_f16_e32 v104, 0x3bb2, v69
	v_mul_f16_e32 v69, 0xbbf7, v69
	v_add_f16_e32 v68, v72, v68
	v_fma_f16 v72, v56, 0x3b76, -v44
	v_mul_f16_e32 v43, 0xb964, v43
	v_fmac_f16_e32 v44, 0x3b76, v56
	v_add_f16_e32 v13, v13, v15
	v_add_f16_e32 v6, v6, v22
	v_fma_f16 v15, v28, 0x3722, -v64
	v_add_f16_e64 v168, v168, v173
	v_fmac_f16_e64 v172, 0x3964, v65
	v_add_f16_e64 v167, v167, v171
	v_fma_f16 v169, v57, 0xb8d2, -v176
	v_add_f16_e32 v19, v19, v34
	v_fma_f16 v73, v53, 0xb8d2, -v73
	v_fmac_f16_e64 v186, 0xba62, v70
	v_add_f16_e64 v151, v0, v151
	v_fmac_f16_e64 v161, 0x3bf7, v70
	v_add_f16_e64 v134, v0, v134
	v_fmac_f16_e64 v140, 0xb1e1, v70
	v_fmac_f16_e32 v127, 0xbb29, v70
	v_add_f16_e32 v116, v0, v116
	v_add_f16_e32 v91, v0, v91
	v_fmac_f16_e32 v108, 0x3964, v70
	v_mul_f16_e32 v70, 0xbbb2, v70
	v_add_f16_e32 v41, v0, v72
	v_fma_f16 v72, v54, 0x39e9, -v43
	v_mul_f16_e32 v42, 0xbb29, v42
	v_add_f16_e32 v0, v0, v44
	v_fmac_f16_e32 v43, 0x39e9, v54
	v_add_f16_e32 v12, v12, v13
	v_add_f16_e32 v6, v6, v15
	v_fma_f16 v13, v45, 0x2de8, -v69
	v_add_f16_e64 v168, v168, v172
	v_fmac_f16_e64 v174, 0xbbb2, v63
	v_add_f16_e64 v167, v167, v169
	v_fma_f16 v169, v58, 0x3b76, -v177
	v_add_f16_e32 v19, v33, v19
	v_add_f16_e32 v71, v71, v73
	v_fma_f16 v73, v57, 0xbbdd, -v76
	v_fmamk_f16 v76, v31, 0x39e9, v66
	v_mul_f16_e32 v109, 0x2de8, v49
	v_fmac_f16_e64 v190, 0x3b29, v75
	v_fmac_f16_e64 v159, 0xb964, v75
	;; [unrolled: 1-line block ×4, first 2 shown]
	v_fmac_f16_e32 v106, 0xb5c8, v75
	v_mul_f16_e32 v75, 0xba62, v75
	v_add_f16_e32 v21, v41, v72
	v_fma_f16 v40, v53, 0x3722, -v42
	v_mul_f16_e32 v41, 0xbbf7, v48
	v_add_f16_e32 v0, v0, v43
	v_fmac_f16_e32 v42, 0x3722, v53
	v_add_f16_e32 v11, v11, v12
	v_add_f16_e32 v6, v6, v13
	v_fma_f16 v12, v46, 0xb461, -v70
	v_fma_f16 v87, v54, 0xb8d2, -v87
	;; [unrolled: 1-line block ×3, first 2 shown]
	v_add_f16_e64 v162, v168, v174
	v_add_f16_e64 v150, v170, v150
	;; [unrolled: 1-line block ×3, first 2 shown]
	v_fma_f16 v168, v60, 0xbbdd, -v183
	v_fma_f16 v149, v54, 0xb461, -v149
	;; [unrolled: 1-line block ×3, first 2 shown]
	v_add_f16_e32 v19, v30, v19
	v_add_f16_e32 v71, v71, v73
	v_fma_f16 v73, v58, 0xbacd, -v77
	v_add_f16_e32 v74, v74, v76
	v_fmamk_f16 v76, v28, 0x3722, v64
	v_fma_f16 v199, 0x3bf7, v65, v109
	v_fmac_f16_e64 v193, 0xbbb2, v65
	v_fmac_f16_e64 v163, 0xb1e1, v65
	v_fmac_f16_e64 v145, 0xb5c8, v65
	v_fmac_f16_e64 v128, 0x3a62, v65
	v_fmac_f16_e32 v109, 0xbbf7, v65
	v_mul_f16_e32 v65, 0xb836, v65
	v_add_f16_e32 v21, v21, v40
	v_fma_f16 v38, v57, 0x2de8, -v41
	v_mul_f16_e32 v39, 0xbbb2, v50
	v_add_f16_e32 v0, v0, v42
	v_fmac_f16_e32 v41, 0x2de8, v57
	v_add_f16_e32 v10, v10, v11
	v_add_f16_e32 v6, v6, v12
	v_fma_f16 v11, v47, 0xb8d2, -v75
	v_add_f16_e32 v88, v105, v88
	v_add_f16_e32 v87, v91, v87
	v_fma_f16 v91, v53, 0xbbdd, -v95
	;; [unrolled: 3-line block ×3, first 2 shown]
	v_add_f16_e64 v150, v150, v155
	v_add_f16_e64 v155, v167, v168
	v_fma_f16 v167, v61, 0x39e9, -v181
	v_add_f16_e64 v149, v151, v149
	v_fma_f16 v151, v53, 0x3b76, -v152
	v_add_f16_e64 v143, v146, v143
	v_add_f16_e64 v132, v134, v132
	v_fma_f16 v131, v53, 0x39e9, -v131
	v_add_f16_e32 v19, v29, v19
	v_mul_f16_e32 v81, 0x3b29, v55
	v_add_f16_e32 v71, v71, v73
	v_fma_f16 v73, v60, 0xb461, -v78
	v_add_f16_e32 v74, v74, v76
	v_fmamk_f16 v76, v45, 0x2de8, v69
	v_mul_f16_e32 v17, 0xb1e1, v63
	v_add_f16_e32 v21, v21, v38
	v_fma_f16 v37, v58, 0xb461, -v39
	v_mul_f16_e32 v16, 0xba62, v52
	v_add_f16_e32 v0, v0, v41
	v_fmac_f16_e32 v39, 0xb461, v58
	v_add_f16_e32 v9, v9, v10
	v_add_f16_e32 v6, v6, v11
	v_fma_f16 v10, v49, 0xbacd, -v65
	v_add_f16_e32 v88, v88, v100
	v_add_f16_e32 v87, v87, v91
	v_fma_f16 v91, v57, 0xb461, -v101
	;; [unrolled: 3-line block ×3, first 2 shown]
	v_add_f16_e64 v152, v155, v167
	v_fma_f16 v155, v62, 0xb461, -v184
	v_add_f16_e64 v151, v149, v151
	v_fma_f16 v156, v57, 0xbacd, -v156
	v_add_f16_e64 v139, v143, v139
	v_add_f16_e64 v131, v132, v131
	v_fma_f16 v132, v57, 0x3722, -v133
	v_add_f16_e32 v15, v27, v19
	v_mul_f16_e32 v85, 0x35c8, v59
	v_add_f16_e32 v71, v71, v73
	v_fma_f16 v73, v61, 0x3722, -v81
	v_add_f16_e32 v74, v74, v76
	v_fmamk_f16 v76, v46, 0xb461, v70
	v_add_f16_e32 v21, v21, v37
	v_fma_f16 v20, v60, 0xb8d2, -v16
	v_mul_f16_e32 v36, 0xb836, v55
	v_add_f16_e32 v0, v0, v39
	v_fmac_f16_e32 v16, 0xb8d2, v60
	v_add_f16_e32 v8, v8, v9
	v_add_f16_e32 v6, v6, v10
	v_fma_f16 v9, v51, 0xbbdd, -v17
	v_add_f16_e32 v88, v88, v104
	v_add_f16_e32 v87, v87, v91
	v_fma_f16 v91, v58, 0x39e9, -v98
	;; [unrolled: 3-line block ×3, first 2 shown]
	v_add_f16_e64 v150, v150, v158
	v_add_f16_e64 v149, v152, v155
	;; [unrolled: 1-line block ×3, first 2 shown]
	v_fma_f16 v152, v58, 0x2de8, -v154
	v_add_f16_e64 v139, v139, v144
	v_add_f16_e64 v124, v131, v132
	v_fma_f16 v131, v58, 0xbbdd, -v135
	v_add_f16_e32 v13, v25, v15
	v_add_f16_e32 v71, v71, v73
	v_fma_f16 v73, v62, 0x3b76, -v85
	v_add_f16_e32 v74, v74, v76
	v_fmamk_f16 v76, v47, 0xb8d2, v75
	v_add_f16_e32 v20, v21, v20
	v_fma_f16 v21, v61, 0xbacd, -v36
	v_add_f16_e32 v0, v0, v16
	v_fmac_f16_e32 v36, 0xbacd, v61
	v_add_f16_e32 v7, v7, v8
	v_add_f16_e32 v8, v6, v9
	v_lshlrev_b64_e32 v[5:6], 2, v[4:5]
	v_mov_b32_e32 v4, 0
	v_add_f16_e32 v88, v88, v108
	v_add_f16_e32 v87, v87, v91
	v_fma_f16 v91, v60, 0x3b76, -v102
	v_add_f16_e32 v122, v122, v127
	v_add_f16_e32 v105, v114, v116
	v_fma_f16 v114, v60, 0xbacd, -v115
	v_add_f16_e64 v178, v178, v186
	v_add_f16_e64 v150, v150, v161
	;; [unrolled: 1-line block ×3, first 2 shown]
	v_fma_f16 v152, v60, 0x39e9, -v157
	v_add_f16_e64 v134, v139, v140
	v_add_f16_e64 v124, v124, v131
	v_fma_f16 v126, v60, 0x2de8, -v138
	v_add_f16_e32 v12, v23, v13
	v_add_f16_e32 v71, v71, v73
	;; [unrolled: 1-line block ×3, first 2 shown]
	v_fmamk_f16 v74, v49, 0xbacd, v65
	v_mul_f16_e32 v24, 0xb1e1, v59
	v_add_f16_e32 v9, v0, v36
	v_lshlrev_b64_e32 v[0:1], 2, v[1:2]
	v_mul_f16_e32 v112, 0xbacd, v51
	v_add_f16_e32 v88, v88, v106
	v_add_f16_e32 v84, v87, v91
	v_fma_f16 v87, v61, 0x2de8, -v107
	v_add_co_u32 v5, vcc_lo, s6, v5
	v_add_f16_e64 v119, v122, v129
	v_add_f16_e32 v100, v105, v114
	v_fma_f16 v105, v61, 0xb8d2, -v118
	v_add_f16_e64 v178, v178, v190
	v_add_f16_e64 v150, v150, v159
	;; [unrolled: 1-line block ×3, first 2 shown]
	v_fma_f16 v151, v61, 0xbbdd, -v160
	v_add_f16_e64 v133, v134, v141
	v_add_f16_e32 v123, v124, v126
	v_fma_f16 v124, v61, 0x3b76, -v136
	v_add_f16_e32 v11, v18, v12
	s_wait_alu 0xfffd
	v_add_co_ci_u32_e32 v6, vcc_lo, s7, v6, vcc_lo
	v_add_f16_e32 v48, v73, v74
	v_fmamk_f16 v38, v51, 0xbbdd, v17
	v_add_f16_e32 v20, v20, v21
	v_fma_f16 v21, v62, 0xbbdd, -v24
	v_lshlrev_b64_e32 v[2:3], 2, v[3:4]
	v_fma_f16 v211, 0x3836, v63, v112
	v_add_f16_e32 v88, v88, v109
	v_fmac_f16_e32 v112, 0xb836, v63
	v_add_f16_e32 v79, v84, v87
	v_fma_f16 v84, v62, 0xbacd, -v103
	v_add_co_u32 v0, vcc_lo, v5, v0
	v_add_f16_e64 v117, v119, v128
	v_fmac_f16_e64 v130, 0x3964, v63
	v_add_f16_e32 v95, v100, v105
	v_fma_f16 v100, v62, 0x39e9, -v121
	v_fma_f16 v200, 0x3722, v61, v81
	v_add_f16_e64 v178, v178, v193
	v_fmac_f16_e64 v180, 0x3bf7, v63
	v_add_f16_e64 v150, v150, v163
	v_fmac_f16_e64 v166, 0x3b29, v63
	v_add_f16_e64 v143, v146, v151
	v_fma_f16 v146, v62, 0x3722, -v164
	v_add_f16_e64 v132, v133, v145
	v_fmac_f16_e64 v148, 0xba62, v63
	v_add_f16_e32 v123, v123, v124
	v_fma_f16 v124, v62, 0xb8d2, -v142
	v_add_f16_e32 v10, v14, v11
	s_wait_alu 0xfffd
	v_add_co_ci_u32_e32 v1, vcc_lo, v6, v1, vcc_lo
	v_add_f16_e32 v37, v48, v38
	v_add_f16_e32 v20, v20, v21
	;; [unrolled: 1-line block ×4, first 2 shown]
	v_add_co_u32 v0, vcc_lo, v0, v2
	v_add_f16_e64 v117, v117, v130
	v_add_f16_e32 v95, v95, v100
	v_fma_f16 v210, 0x3b76, v62, v85
	v_add_f16_e64 v90, v90, v200
	v_add_f16_e64 v92, v92, v199
	;; [unrolled: 1-line block ×6, first 2 shown]
	v_add_f16_e32 v122, v123, v124
	v_fmac_f16_e32 v24, 0xbbdd, v62
	s_wait_alu 0xfffd
	v_add_co_ci_u32_e32 v1, vcc_lo, v1, v3, vcc_lo
	v_pack_b32_f16 v2, v10, v7
	v_pack_b32_f16 v3, v20, v37
	;; [unrolled: 1-line block ×5, first 2 shown]
	v_add_f16_e64 v89, v89, v209
	v_add_f16_e64 v90, v90, v210
	;; [unrolled: 1-line block ×3, first 2 shown]
	v_add_f16_e32 v4, v9, v24
	v_pack_b32_f16 v9, v122, v131
	v_pack_b32_f16 v10, v143, v150
	;; [unrolled: 1-line block ×3, first 2 shown]
	s_clause 0x7
	global_store_b32 v[0:1], v2, off
	global_store_b32 v[0:1], v3, off offset:64
	global_store_b32 v[0:1], v5, off offset:128
	;; [unrolled: 1-line block ×7, first 2 shown]
	v_pack_b32_f16 v2, v165, v153
	v_pack_b32_f16 v3, v147, v137
	;; [unrolled: 1-line block ×9, first 2 shown]
	s_clause 0x8
	global_store_b32 v[0:1], v2, off offset:512
	global_store_b32 v[0:1], v3, off offset:576
	global_store_b32 v[0:1], v5, off offset:640
	global_store_b32 v[0:1], v6, off offset:704
	global_store_b32 v[0:1], v7, off offset:768
	global_store_b32 v[0:1], v9, off offset:832
	global_store_b32 v[0:1], v10, off offset:896
	global_store_b32 v[0:1], v11, off offset:960
	global_store_b32 v[0:1], v4, off offset:1024
.LBB0_18:
	s_nop 0
	s_sendmsg sendmsg(MSG_DEALLOC_VGPRS)
	s_endpgm
	.section	.rodata,"a",@progbits
	.p2align	6, 0x0
	.amdhsa_kernel fft_rtc_fwd_len272_factors_16_17_wgs_119_tpt_17_halfLds_half_op_CI_CI_unitstride_sbrr_dirReg
		.amdhsa_group_segment_fixed_size 0
		.amdhsa_private_segment_fixed_size 0
		.amdhsa_kernarg_size 104
		.amdhsa_user_sgpr_count 2
		.amdhsa_user_sgpr_dispatch_ptr 0
		.amdhsa_user_sgpr_queue_ptr 0
		.amdhsa_user_sgpr_kernarg_segment_ptr 1
		.amdhsa_user_sgpr_dispatch_id 0
		.amdhsa_user_sgpr_private_segment_size 0
		.amdhsa_wavefront_size32 1
		.amdhsa_uses_dynamic_stack 0
		.amdhsa_enable_private_segment 0
		.amdhsa_system_sgpr_workgroup_id_x 1
		.amdhsa_system_sgpr_workgroup_id_y 0
		.amdhsa_system_sgpr_workgroup_id_z 0
		.amdhsa_system_sgpr_workgroup_info 0
		.amdhsa_system_vgpr_workitem_id 0
		.amdhsa_next_free_vgpr 212
		.amdhsa_next_free_sgpr 39
		.amdhsa_reserve_vcc 1
		.amdhsa_float_round_mode_32 0
		.amdhsa_float_round_mode_16_64 0
		.amdhsa_float_denorm_mode_32 3
		.amdhsa_float_denorm_mode_16_64 3
		.amdhsa_fp16_overflow 0
		.amdhsa_workgroup_processor_mode 1
		.amdhsa_memory_ordered 1
		.amdhsa_forward_progress 0
		.amdhsa_round_robin_scheduling 0
		.amdhsa_exception_fp_ieee_invalid_op 0
		.amdhsa_exception_fp_denorm_src 0
		.amdhsa_exception_fp_ieee_div_zero 0
		.amdhsa_exception_fp_ieee_overflow 0
		.amdhsa_exception_fp_ieee_underflow 0
		.amdhsa_exception_fp_ieee_inexact 0
		.amdhsa_exception_int_div_zero 0
	.end_amdhsa_kernel
	.text
.Lfunc_end0:
	.size	fft_rtc_fwd_len272_factors_16_17_wgs_119_tpt_17_halfLds_half_op_CI_CI_unitstride_sbrr_dirReg, .Lfunc_end0-fft_rtc_fwd_len272_factors_16_17_wgs_119_tpt_17_halfLds_half_op_CI_CI_unitstride_sbrr_dirReg
                                        ; -- End function
	.section	.AMDGPU.csdata,"",@progbits
; Kernel info:
; codeLenInByte = 10628
; NumSgprs: 41
; NumVgprs: 212
; ScratchSize: 0
; MemoryBound: 0
; FloatMode: 240
; IeeeMode: 1
; LDSByteSize: 0 bytes/workgroup (compile time only)
; SGPRBlocks: 5
; VGPRBlocks: 26
; NumSGPRsForWavesPerEU: 41
; NumVGPRsForWavesPerEU: 212
; Occupancy: 7
; WaveLimiterHint : 1
; COMPUTE_PGM_RSRC2:SCRATCH_EN: 0
; COMPUTE_PGM_RSRC2:USER_SGPR: 2
; COMPUTE_PGM_RSRC2:TRAP_HANDLER: 0
; COMPUTE_PGM_RSRC2:TGID_X_EN: 1
; COMPUTE_PGM_RSRC2:TGID_Y_EN: 0
; COMPUTE_PGM_RSRC2:TGID_Z_EN: 0
; COMPUTE_PGM_RSRC2:TIDIG_COMP_CNT: 0
	.text
	.p2alignl 7, 3214868480
	.fill 96, 4, 3214868480
	.type	__hip_cuid_9307dfe02ef4f81,@object ; @__hip_cuid_9307dfe02ef4f81
	.section	.bss,"aw",@nobits
	.globl	__hip_cuid_9307dfe02ef4f81
__hip_cuid_9307dfe02ef4f81:
	.byte	0                               ; 0x0
	.size	__hip_cuid_9307dfe02ef4f81, 1

	.ident	"AMD clang version 19.0.0git (https://github.com/RadeonOpenCompute/llvm-project roc-6.4.0 25133 c7fe45cf4b819c5991fe208aaa96edf142730f1d)"
	.section	".note.GNU-stack","",@progbits
	.addrsig
	.addrsig_sym __hip_cuid_9307dfe02ef4f81
	.amdgpu_metadata
---
amdhsa.kernels:
  - .args:
      - .actual_access:  read_only
        .address_space:  global
        .offset:         0
        .size:           8
        .value_kind:     global_buffer
      - .offset:         8
        .size:           8
        .value_kind:     by_value
      - .actual_access:  read_only
        .address_space:  global
        .offset:         16
        .size:           8
        .value_kind:     global_buffer
      - .actual_access:  read_only
        .address_space:  global
        .offset:         24
        .size:           8
        .value_kind:     global_buffer
      - .actual_access:  read_only
        .address_space:  global
        .offset:         32
        .size:           8
        .value_kind:     global_buffer
      - .offset:         40
        .size:           8
        .value_kind:     by_value
      - .actual_access:  read_only
        .address_space:  global
        .offset:         48
        .size:           8
        .value_kind:     global_buffer
      - .actual_access:  read_only
        .address_space:  global
        .offset:         56
        .size:           8
        .value_kind:     global_buffer
      - .offset:         64
        .size:           4
        .value_kind:     by_value
      - .actual_access:  read_only
        .address_space:  global
        .offset:         72
        .size:           8
        .value_kind:     global_buffer
      - .actual_access:  read_only
        .address_space:  global
        .offset:         80
        .size:           8
        .value_kind:     global_buffer
      - .actual_access:  read_only
        .address_space:  global
        .offset:         88
        .size:           8
        .value_kind:     global_buffer
      - .actual_access:  write_only
        .address_space:  global
        .offset:         96
        .size:           8
        .value_kind:     global_buffer
    .group_segment_fixed_size: 0
    .kernarg_segment_align: 8
    .kernarg_segment_size: 104
    .language:       OpenCL C
    .language_version:
      - 2
      - 0
    .max_flat_workgroup_size: 119
    .name:           fft_rtc_fwd_len272_factors_16_17_wgs_119_tpt_17_halfLds_half_op_CI_CI_unitstride_sbrr_dirReg
    .private_segment_fixed_size: 0
    .sgpr_count:     41
    .sgpr_spill_count: 0
    .symbol:         fft_rtc_fwd_len272_factors_16_17_wgs_119_tpt_17_halfLds_half_op_CI_CI_unitstride_sbrr_dirReg.kd
    .uniform_work_group_size: 1
    .uses_dynamic_stack: false
    .vgpr_count:     212
    .vgpr_spill_count: 0
    .wavefront_size: 32
    .workgroup_processor_mode: 1
amdhsa.target:   amdgcn-amd-amdhsa--gfx1201
amdhsa.version:
  - 1
  - 2
...

	.end_amdgpu_metadata
